;; amdgpu-corpus repo=zjin-lcf/HeCBench kind=compiled arch=gfx1250 opt=O3
	.amdgcn_target "amdgcn-amd-amdhsa--gfx1250"
	.amdhsa_code_object_version 6
	.text
	.protected	_Z3spmPKfiPKhS2_15HIP_vector_typeIiLj3EES4_PhS5_Pb ; -- Begin function _Z3spmPKfiPKhS2_15HIP_vector_typeIiLj3EES4_PhS5_Pb
	.globl	_Z3spmPKfiPKhS2_15HIP_vector_typeIiLj3EES4_PhS5_Pb
	.p2align	8
	.type	_Z3spmPKfiPKhS2_15HIP_vector_typeIiLj3EES4_PhS5_Pb,@function
_Z3spmPKfiPKhS2_15HIP_vector_typeIiLj3EES4_PhS5_Pb: ; @_Z3spmPKfiPKhS2_15HIP_vector_typeIiLj3EES4_PhS5_Pb
; %bb.0:
	s_load_b32 s19, s[0:1], 0x8
	s_bfe_u32 s2, ttmp6, 0x4000c
	s_and_b32 s3, ttmp6, 15
	s_add_co_i32 s2, s2, 1
	s_getreg_b32 s4, hwreg(HW_REG_IB_STS2, 6, 4)
	s_mul_i32 s2, ttmp9, s2
	s_delay_alu instid0(SALU_CYCLE_1)
	s_add_co_i32 s3, s3, s2
	s_cmp_eq_u32 s4, 0
	s_cselect_b32 s2, ttmp9, s3
	s_mov_b32 s3, 0
	v_lshl_add_u32 v0, s2, 7, v0
	s_mov_b32 s2, exec_lo
	s_wait_kmcnt 0x0
	s_delay_alu instid0(VALU_DEP_1)
	v_cmpx_gt_i32_e64 s19, v0
	s_cbranch_execz .LBB0_11
; %bb.1:
	s_clause 0x5
	s_load_b64 s[34:35], s[0:1], 0x20
	s_load_b64 s[40:41], s[0:1], 0x0
	s_load_b96 s[12:14], s[0:1], 0x2c
	s_load_b64 s[36:37], s[0:1], 0x48
	s_load_b128 s[4:7], s[0:1], 0x38
	s_load_b128 s[8:11], s[0:1], 0x10
	v_dual_ashrrev_i32 v1, 31, v0 :: v_dual_mov_b32 v3, 0
	s_mov_b32 s15, s3
	s_get_pc_i64 s[38:39]
	s_add_nc_u64 s[38:39], s[38:39], __const._Z3spmPKfiPKhS2_15HIP_vector_typeIiLj3EES4_PhS5_Pb.ran@rel64+4
	s_wait_kmcnt 0x0
	s_clause 0x3
	s_load_b96 s[16:18], s[40:41], 0x0
	s_load_b96 s[20:22], s[40:41], 0x10
	;; [unrolled: 1-line block ×4, first 2 shown]
	s_add_co_i32 s0, s34, -2
	s_add_co_i32 s1, s35, -2
	s_abs_i32 s33, s0
	s_abs_i32 s48, s1
	s_cvt_f32_i32 s23, s14
	s_cvt_f32_u32 s2, s33
	s_cvt_f32_u32 s14, s48
	s_cvt_f32_i32 s31, s12
	s_wait_xcnt 0x0
	s_ashr_i32 s41, s12, 31
	v_rcp_iflag_f32_e32 v2, s2
	v_rcp_iflag_f32_e32 v4, s14
	s_mov_b32 s40, s12
	s_mul_i32 s42, s13, s12
	s_cvt_f32_i32 s12, s0
	s_cvt_f32_i32 s49, s1
	s_sub_co_i32 s2, 0, s33
	v_readfirstlane_b32 s0, v2
	v_readfirstlane_b32 s1, v4
	s_cvt_f32_i32 s27, s13
	s_mul_i32 s46, s35, s34
	s_ashr_i32 s45, s34, 31
	s_mul_f32 s14, s0, 0x4f7ffffe
	s_mul_f32 s50, s1, 0x4f7ffffe
	s_wait_kmcnt 0x0
	s_mov_b32 s0, s18
	s_mov_b32 s1, s26
	s_cvt_u32_f32 s14, s14
	s_cvt_u32_f32 s18, s50
	s_sub_co_i32 s26, 0, s48
	v_mov_b64_e32 v[4:5], s[0:1]
	s_mul_i32 s2, s2, s14
	s_mul_i32 s26, s26, s18
	s_mul_hi_u32 s0, s14, s2
	s_mul_hi_u32 s1, s18, s26
	s_mov_b32 s44, s34
	s_ashr_i32 s43, s42, 31
	s_ashr_i32 s47, s46, 31
	s_add_co_i32 s2, s14, s0
	s_add_co_i32 s14, s18, s1
	s_mov_b32 s18, s3
	s_branch .LBB0_3
.LBB0_2:                                ;   in Loop: Header=BB0_3 Depth=1
	s_wait_xcnt 0x0
	s_or_b32 exec_lo, exec_lo, s0
	v_add_nc_u64_e32 v[0:1], 0x8000, v[0:1]
	v_add_nc_u64_e32 v[8:9], s[6:7], v[6:7]
	v_add_nc_u64_e32 v[6:7], s[36:37], v[6:7]
	global_store_b8 v[8:9], v12, off
	global_store_b8 v[6:7], v2, off
	v_cmp_le_i32_e32 vcc_lo, s19, v0
	s_or_b32 s18, vcc_lo, s18
	s_wait_xcnt 0x0
	s_and_not1_b32 exec_lo, exec_lo, s18
	s_cbranch_execz .LBB0_11
.LBB0_3:                                ; =>This Inner Loop Header: Depth=1
	v_mul_hi_i32 v2, 0x151d07eb, v0
	v_cvt_f32_i32_e32 v7, v0
	s_mov_b32 s50, exec_lo
	v_sub_nc_u32_e32 v8, 0, v0
	s_delay_alu instid0(VALU_DEP_2) | instskip(SKIP_2) | instid1(VALU_DEP_3)
	v_div_scale_f32 v10, null, s12, s12, v7
	v_div_scale_f32 v12, vcc_lo, v7, s12, v7
	v_dual_lshrrev_b32 v6, 31, v2 :: v_dual_ashrrev_i32 v2, 3, v2
	v_rcp_f32_e32 v11, v10
	s_delay_alu instid0(VALU_DEP_1) | instskip(NEXT) | instid1(VALU_DEP_1)
	v_add_nc_u32_e32 v2, v2, v6
	v_mul_lo_u32 v2, 0x61, v2
	s_delay_alu instid0(VALU_DEP_1) | instskip(SKIP_3) | instid1(VALU_DEP_1)
	v_sub_nc_u32_e32 v2, v0, v2
	global_load_b32 v6, v2, s[38:39] scale_offset
	s_wait_xcnt 0x0
	v_fma_f32 v2, -v10, v11, 1.0
	v_dual_fmac_f32 v11, v2, v11 :: v_dual_max_i32 v2, v0, v8
	s_delay_alu instid0(VALU_DEP_1) | instskip(NEXT) | instid1(VALU_DEP_2)
	v_mul_f32_e32 v13, v12, v11
	v_mul_u64_e32 v[8:9], s[2:3], v[2:3]
	s_delay_alu instid0(VALU_DEP_2) | instskip(NEXT) | instid1(VALU_DEP_1)
	v_fma_f32 v8, -v10, v13, v12
	v_fmac_f32_e32 v13, v8, v11
	s_delay_alu instid0(VALU_DEP_1) | instskip(NEXT) | instid1(VALU_DEP_1)
	v_fma_f32 v8, -v10, v13, v12
	v_div_fmas_f32 v8, v8, v11, v13
	s_delay_alu instid0(VALU_DEP_1) | instskip(NEXT) | instid1(VALU_DEP_1)
	v_div_fixup_f32 v7, v8, s12, v7
	v_floor_f32_e32 v10, v7
	v_mul_lo_u32 v7, v9, s33
	s_delay_alu instid0(VALU_DEP_2) | instskip(SKIP_1) | instid1(VALU_DEP_2)
	v_cvt_i32_f32_e32 v11, v10
	v_div_scale_f32 v15, vcc_lo, v10, s49, v10
	v_sub_nc_u32_e32 v8, 0, v11
	s_delay_alu instid0(VALU_DEP_1) | instskip(SKIP_1) | instid1(VALU_DEP_2)
	v_dual_sub_nc_u32 v7, v2, v7 :: v_dual_max_i32 v2, v11, v8
	v_ashrrev_i32_e32 v11, 31, v11
	v_mul_u64_e32 v[8:9], s[14:15], v[2:3]
	v_div_scale_f32 v8, null, s49, s49, v10
	s_delay_alu instid0(VALU_DEP_1) | instskip(SKIP_1) | instid1(TRANS32_DEP_1)
	v_rcp_f32_e32 v12, v8
	v_nop
	v_fma_f32 v14, -v8, v12, 1.0
	s_delay_alu instid0(VALU_DEP_4) | instskip(NEXT) | instid1(VALU_DEP_1)
	v_mul_lo_u32 v9, v9, s48
	v_sub_nc_u32_e32 v2, v2, v9
	v_subrev_nc_u32_e32 v13, s33, v7
	v_cmp_le_u32_e64 s0, s33, v7
	s_delay_alu instid0(VALU_DEP_1) | instskip(NEXT) | instid1(VALU_DEP_4)
	v_cndmask_b32_e64 v9, v7, v13, s0
	v_subrev_nc_u32_e32 v13, s48, v2
	v_cmp_le_u32_e64 s0, s48, v2
	s_delay_alu instid0(VALU_DEP_1) | instskip(NEXT) | instid1(VALU_DEP_4)
	v_dual_ashrrev_i32 v7, 31, v0 :: v_dual_cndmask_b32 v2, v2, v13, s0
	v_cmp_le_u32_e64 s0, s33, v9
	v_fmac_f32_e32 v12, v14, v12
	v_subrev_nc_u32_e32 v14, s33, v9
	s_delay_alu instid0(VALU_DEP_1) | instskip(SKIP_2) | instid1(VALU_DEP_3)
	v_dual_cndmask_b32 v9, v9, v14, s0 :: v_dual_mul_f32 v16, v15, v12
	v_subrev_nc_u32_e32 v14, s48, v2
	v_cmp_le_u32_e64 s0, s48, v2
	v_dual_fma_f32 v13, -v8, v16, v15 :: v_dual_bitop2_b32 v9, v9, v7 bitop3:0x14
	s_delay_alu instid0(VALU_DEP_1) | instskip(NEXT) | instid1(VALU_DEP_1)
	v_dual_cndmask_b32 v2, v2, v14, s0 :: v_dual_sub_nc_u32 v9, v9, v7
	v_dual_fmac_f32 v16, v13, v12 :: v_dual_bitop2_b32 v2, v2, v11 bitop3:0x14
	s_delay_alu instid0(VALU_DEP_1) | instskip(NEXT) | instid1(VALU_DEP_1)
	v_dual_fma_f32 v8, -v8, v16, v15 :: v_dual_sub_nc_u32 v2, v2, v11
	v_div_fmas_f32 v12, v8, v12, v16
	s_delay_alu instid0(VALU_DEP_4) | instskip(NEXT) | instid1(VALU_DEP_3)
	v_cvt_f32_i32_e32 v8, v9
	v_cvt_f32_i32_e32 v2, v2
	s_delay_alu instid0(VALU_DEP_3) | instskip(NEXT) | instid1(VALU_DEP_1)
	v_div_fixup_f32 v9, v12, s49, v10
                                        ; implicit-def: $vgpr12
	v_pk_add_f32 v[8:9], v[8:9], 1.0 op_sel_hi:[1,0]
	s_wait_loadcnt 0x0
	s_delay_alu instid0(VALU_DEP_1) | instskip(NEXT) | instid1(VALU_DEP_1)
	v_pk_add_f32 v[8:9], v[8:9], v[6:7] op_sel_hi:[1,0]
	v_pk_mul_f32 v[10:11], v[8:9], v[4:5]
	v_add_f32_e32 v2, 1.0, v2
	s_delay_alu instid0(VALU_DEP_1) | instskip(NEXT) | instid1(VALU_DEP_1)
	v_add_f32_e32 v2, v6, v2
	v_fma_f32 v6, s22, v2, v10
	s_delay_alu instid0(VALU_DEP_1) | instskip(NEXT) | instid1(VALU_DEP_1)
	v_add_f32_e32 v6, v6, v11
	v_add_f32_e32 v6, s30, v6
	s_delay_alu instid0(VALU_DEP_1)
	v_cmp_nle_f32_e64 s26, 1.0, v6
	v_cmpx_le_f32_e32 1.0, v6
	s_cbranch_execz .LBB0_9
; %bb.4:                                ;   in Loop: Header=BB0_3 Depth=1
	v_mov_b64_e32 v[10:11], s[20:21]
	v_mov_b64_e32 v[12:13], s[16:17]
	v_mov_b64_e32 v[14:15], s[24:25]
	v_cmp_gt_f32_e32 vcc_lo, s23, v6
	s_delay_alu instid0(VALU_DEP_4) | instskip(NEXT) | instid1(VALU_DEP_1)
	v_pk_mul_f32 v[10:11], v[10:11], v[2:3] op_sel_hi:[1,0]
	v_pk_fma_f32 v[10:11], v[12:13], v[8:9], v[10:11] op_sel_hi:[1,0,1]
	v_mov_b64_e32 v[12:13], s[28:29]
	s_delay_alu instid0(VALU_DEP_2) | instskip(NEXT) | instid1(VALU_DEP_1)
	v_pk_fma_f32 v[10:11], v[8:9], v[14:15], v[10:11] op_sel:[1,0,0]
	v_pk_add_f32 v[10:11], v[12:13], v[10:11]
                                        ; implicit-def: $vgpr12
	s_delay_alu instid0(VALU_DEP_1) | instskip(SKIP_1) | instid1(SALU_CYCLE_1)
	v_cmp_le_f32_e64 s0, 1.0, v11
	s_and_b32 s0, vcc_lo, s0
	s_xor_b32 s51, s0, -1
	s_and_saveexec_b32 s52, s0
	s_cbranch_execz .LBB0_8
; %bb.5:                                ;   in Loop: Header=BB0_3 Depth=1
	v_cmp_gt_f32_e32 vcc_lo, s31, v10
	v_cmp_gt_f32_e64 s0, s27, v11
	v_cmp_le_f32_e64 s1, 1.0, v10
                                        ; implicit-def: $vgpr12
	s_and_b32 s0, s0, vcc_lo
	s_delay_alu instid0(SALU_CYCLE_1)
	s_and_b32 s53, s0, s1
	s_mov_b32 s1, -1
	s_and_saveexec_b32 s0, s53
	s_cbranch_execz .LBB0_7
; %bb.6:                                ;   in Loop: Header=BB0_3 Depth=1
	v_floor_f32_e32 v12, v6
	v_floor_f32_e32 v13, v9
	;; [unrolled: 1-line block ×5, first 2 shown]
	v_cvt_i32_f32_e32 v28, v12
	v_cvt_i32_f32_e32 v29, v13
	v_cvt_i32_f32_e32 v30, v14
	v_cvt_i32_f32_e32 v31, v15
	v_floor_f32_e32 v14, v10
	s_delay_alu instid0(VALU_DEP_4) | instskip(SKIP_2) | instid1(VALU_DEP_2)
	v_dual_add_nc_u32 v12, -1, v28 :: v_dual_add_nc_u32 v13, -1, v29
	v_cvt_i32_f32_e32 v16, v16
	s_xor_b32 s1, exec_lo, -1
	v_mul_lo_u32 v12, v12, s13
	s_delay_alu instid0(VALU_DEP_3) | instskip(NEXT) | instid1(VALU_DEP_2)
	v_mul_lo_u32 v13, v13, s35
	v_add3_u32 v15, v30, v12, -1
	s_delay_alu instid0(VALU_DEP_2) | instskip(SKIP_1) | instid1(VALU_DEP_3)
	v_add3_u32 v17, v31, v13, -1
	v_cvt_i32_f32_e32 v12, v14
	v_mul_lo_u32 v14, v15, s40
	s_delay_alu instid0(VALU_DEP_3) | instskip(NEXT) | instid1(VALU_DEP_3)
	v_mul_lo_u32 v18, v17, s34
	v_ashrrev_i32_e32 v13, 31, v12
	s_delay_alu instid0(VALU_DEP_3) | instskip(NEXT) | instid1(VALU_DEP_2)
	v_dual_ashrrev_i32 v17, 31, v16 :: v_dual_ashrrev_i32 v15, 31, v14
	v_add_nc_u64_e32 v[20:21], s[10:11], v[12:13]
	s_delay_alu instid0(VALU_DEP_4) | instskip(NEXT) | instid1(VALU_DEP_3)
	v_ashrrev_i32_e32 v19, 31, v18
	v_add_nc_u64_e32 v[22:23], s[8:9], v[16:17]
	v_cvt_f32_i32_e32 v13, v12
	v_cvt_f32_i32_e32 v12, v30
	;; [unrolled: 1-line block ×3, first 2 shown]
	v_add_nc_u64_e32 v[14:15], v[20:21], v[14:15]
	v_add_nc_u64_e32 v[18:19], v[22:23], v[18:19]
	s_delay_alu instid0(VALU_DEP_2) | instskip(SKIP_1) | instid1(VALU_DEP_3)
	v_add_nc_u64_e32 v[20:21], s[40:41], v[14:15]
	v_add_nc_u64_e32 v[22:23], s[42:43], v[14:15]
	;; [unrolled: 1-line block ×4, first 2 shown]
	s_clause 0x1
	global_load_u16 v32, v[20:21], off offset:-1
	global_load_u16 v33, v[22:23], off offset:-1
	s_wait_xcnt 0x1
	v_add_nc_u64_e32 v[20:21], s[40:41], v[22:23]
	s_wait_xcnt 0x0
	v_add_nc_u64_e32 v[22:23], s[44:45], v[26:27]
	s_clause 0x1
	global_load_u16 v34, v[24:25], off offset:-1
	global_load_u16 v35, v[26:27], off offset:-1
	s_clause 0x1
	global_load_u16 v38, v[20:21], off offset:-1
	global_load_u16 v36, v[14:15], off offset:-1
	;; [unrolled: 3-line block ×3, first 2 shown]
	s_wait_xcnt 0x2
	v_cvt_f32_i32_e32 v15, v16
	v_cvt_f32_i32_e32 v14, v28
	;; [unrolled: 1-line block ×3, first 2 shown]
	v_dual_sub_f32 v12, v11, v12 :: v_dual_sub_f32 v11, v10, v13
	s_wait_xcnt 0x0
	s_delay_alu instid0(VALU_DEP_3) | instskip(NEXT) | instid1(VALU_DEP_3)
	v_dual_sub_f32 v19, v8, v15 :: v_dual_sub_f32 v14, v6, v14
	v_dual_sub_f32 v16, v2, v16 :: v_dual_sub_f32 v8, v9, v17
	s_delay_alu instid0(VALU_DEP_3) | instskip(NEXT) | instid1(VALU_DEP_3)
	v_dual_sub_f32 v20, 1.0, v12 :: v_dual_sub_f32 v10, 1.0, v11
	v_dual_mov_b32 v22, v11 :: v_dual_sub_f32 v18, 1.0, v19
	s_delay_alu instid0(VALU_DEP_3) | instskip(NEXT) | instid1(VALU_DEP_3)
	v_dual_sub_f32 v24, 1.0, v16 :: v_dual_mov_b32 v26, v19
	v_dual_mov_b32 v23, v10 :: v_dual_mov_b32 v13, v20
	s_delay_alu instid0(VALU_DEP_2)
	v_dual_mov_b32 v27, v18 :: v_dual_mov_b32 v17, v24
	s_wait_loadcnt 0x7
	v_cvt_f32_ubyte1_e32 v2, v32
	s_wait_loadcnt 0x6
	v_cvt_f32_ubyte1_e32 v29, v33
	v_cvt_f32_ubyte0_e32 v28, v33
	s_wait_loadcnt 0x5
	v_cvt_f32_ubyte0_e32 v15, v34
	v_cvt_f32_ubyte1_e32 v6, v34
	s_wait_loadcnt 0x4
	v_cvt_f32_ubyte1_e32 v31, v35
	v_cvt_f32_ubyte0_e32 v30, v35
	s_wait_loadcnt 0x2
	v_cvt_f32_ubyte1_e32 v33, v36
	v_cvt_f32_ubyte0_e32 v35, v36
	v_cvt_f32_ubyte1_e32 v34, v38
	s_wait_loadcnt 0x0
	v_cvt_f32_ubyte0_e32 v37, v39
	v_cvt_f32_ubyte1_e32 v36, v40
	v_cvt_f32_ubyte0_e32 v9, v32
	v_dual_mul_f32 v21, v11, v2 :: v_dual_mul_f32 v2, v11, v29
	v_cvt_f32_ubyte0_e32 v32, v38
	v_cvt_f32_ubyte1_e32 v39, v39
	v_pk_mul_f32 v[22:23], v[22:23], v[34:35]
	v_cvt_f32_ubyte0_e32 v38, v40
	v_pk_mul_f32 v[26:27], v[26:27], v[36:37]
	v_dual_mul_f32 v25, v19, v6 :: v_dual_mul_f32 v6, v19, v31
	v_fmac_f32_e32 v21, v10, v9
	v_pk_fma_f32 v[28:29], v[10:11], v[28:29], v[2:3] op_sel_hi:[1,1,0]
	v_pk_fma_f32 v[10:11], v[10:11], v[32:33], v[22:23]
	v_pk_fma_f32 v[22:23], v[18:19], v[38:39], v[26:27]
	v_fmac_f32_e32 v25, v18, v15
	v_pk_fma_f32 v[18:19], v[18:19], v[30:31], v[6:7] op_sel_hi:[1,1,0]
	v_mov_b32_e32 v29, v12
	v_pk_mul_f32 v[10:11], v[12:13], v[10:11]
	v_mov_b32_e32 v19, v16
	v_pk_mul_f32 v[12:13], v[16:17], v[22:23]
	v_dual_sub_f32 v15, 1.0, v14 :: v_dual_sub_f32 v9, 1.0, v8
	s_delay_alu instid0(VALU_DEP_4) | instskip(NEXT) | instid1(VALU_DEP_3)
	v_pk_fma_f32 v[10:11], v[20:21], v[28:29], v[10:11]
	v_pk_fma_f32 v[12:13], v[24:25], v[18:19], v[12:13]
	s_delay_alu instid0(VALU_DEP_2) | instskip(NEXT) | instid1(VALU_DEP_2)
	v_pk_mul_f32 v[10:11], v[14:15], v[10:11]
	v_pk_mul_f32 v[8:9], v[8:9], v[12:13]
	s_delay_alu instid0(VALU_DEP_1) | instskip(SKIP_1) | instid1(VALU_DEP_2)
	v_dual_add_f32 v2, v11, v10 :: v_dual_add_f32 v6, v9, v8
	v_add_nc_u64_e32 v[8:9], s[4:5], v[0:1]
	v_add_f32_e32 v2, 0.5, v2
	s_delay_alu instid0(VALU_DEP_3) | instskip(NEXT) | instid1(VALU_DEP_1)
	v_add_f32_e32 v6, 0.5, v6
	v_floor_f32_e32 v10, v6
	v_mov_b32_e32 v6, v0
	s_delay_alu instid0(VALU_DEP_4) | instskip(NEXT) | instid1(VALU_DEP_3)
	v_floor_f32_e32 v2, v2
	v_cvt_i32_f32_e32 v12, v10
	s_delay_alu instid0(VALU_DEP_2)
	v_cvt_i32_f32_e32 v2, v2
	global_store_b8 v[8:9], v2, off
.LBB0_7:                                ;   in Loop: Header=BB0_3 Depth=1
	s_wait_xcnt 0x0
	s_or_b32 exec_lo, exec_lo, s0
	s_delay_alu instid0(SALU_CYCLE_1) | instskip(SKIP_1) | instid1(SALU_CYCLE_1)
	s_and_not1_b32 s0, s51, exec_lo
	s_and_b32 s1, s1, exec_lo
	s_or_b32 s51, s0, s1
.LBB0_8:                                ;   in Loop: Header=BB0_3 Depth=1
	s_or_b32 exec_lo, exec_lo, s52
	s_delay_alu instid0(SALU_CYCLE_1) | instskip(SKIP_1) | instid1(SALU_CYCLE_1)
	s_and_not1_b32 s0, s26, exec_lo
	s_and_b32 s1, s51, exec_lo
	s_or_b32 s26, s0, s1
.LBB0_9:                                ;   in Loop: Header=BB0_3 Depth=1
	s_or_b32 exec_lo, exec_lo, s50
	v_mov_b32_e32 v2, 1
	s_and_saveexec_b32 s0, s26
	s_cbranch_execz .LBB0_2
; %bb.10:                               ;   in Loop: Header=BB0_3 Depth=1
	v_add_nc_u64_e32 v[8:9], s[4:5], v[0:1]
	v_mov_b64_e32 v[6:7], v[0:1]
	v_dual_mov_b32 v12, 0 :: v_dual_mov_b32 v2, 0
	global_store_b8 v[8:9], v12, off
	s_branch .LBB0_2
.LBB0_11:
	s_endpgm
	.section	.rodata,"a",@progbits
	.p2align	6, 0x0
	.amdhsa_kernel _Z3spmPKfiPKhS2_15HIP_vector_typeIiLj3EES4_PhS5_Pb
		.amdhsa_group_segment_fixed_size 0
		.amdhsa_private_segment_fixed_size 0
		.amdhsa_kernarg_size 80
		.amdhsa_user_sgpr_count 2
		.amdhsa_user_sgpr_dispatch_ptr 0
		.amdhsa_user_sgpr_queue_ptr 0
		.amdhsa_user_sgpr_kernarg_segment_ptr 1
		.amdhsa_user_sgpr_dispatch_id 0
		.amdhsa_user_sgpr_kernarg_preload_length 0
		.amdhsa_user_sgpr_kernarg_preload_offset 0
		.amdhsa_user_sgpr_private_segment_size 0
		.amdhsa_wavefront_size32 1
		.amdhsa_uses_dynamic_stack 0
		.amdhsa_enable_private_segment 0
		.amdhsa_system_sgpr_workgroup_id_x 1
		.amdhsa_system_sgpr_workgroup_id_y 0
		.amdhsa_system_sgpr_workgroup_id_z 0
		.amdhsa_system_sgpr_workgroup_info 0
		.amdhsa_system_vgpr_workitem_id 0
		.amdhsa_next_free_vgpr 41
		.amdhsa_next_free_sgpr 54
		.amdhsa_named_barrier_count 0
		.amdhsa_reserve_vcc 1
		.amdhsa_float_round_mode_32 0
		.amdhsa_float_round_mode_16_64 0
		.amdhsa_float_denorm_mode_32 3
		.amdhsa_float_denorm_mode_16_64 3
		.amdhsa_fp16_overflow 0
		.amdhsa_memory_ordered 1
		.amdhsa_forward_progress 1
		.amdhsa_inst_pref_size 16
		.amdhsa_round_robin_scheduling 0
		.amdhsa_exception_fp_ieee_invalid_op 0
		.amdhsa_exception_fp_denorm_src 0
		.amdhsa_exception_fp_ieee_div_zero 0
		.amdhsa_exception_fp_ieee_overflow 0
		.amdhsa_exception_fp_ieee_underflow 0
		.amdhsa_exception_fp_ieee_inexact 0
		.amdhsa_exception_int_div_zero 0
	.end_amdhsa_kernel
	.text
.Lfunc_end0:
	.size	_Z3spmPKfiPKhS2_15HIP_vector_typeIiLj3EES4_PhS5_Pb, .Lfunc_end0-_Z3spmPKfiPKhS2_15HIP_vector_typeIiLj3EES4_PhS5_Pb
                                        ; -- End function
	.set _Z3spmPKfiPKhS2_15HIP_vector_typeIiLj3EES4_PhS5_Pb.num_vgpr, 41
	.set _Z3spmPKfiPKhS2_15HIP_vector_typeIiLj3EES4_PhS5_Pb.num_agpr, 0
	.set _Z3spmPKfiPKhS2_15HIP_vector_typeIiLj3EES4_PhS5_Pb.numbered_sgpr, 54
	.set _Z3spmPKfiPKhS2_15HIP_vector_typeIiLj3EES4_PhS5_Pb.num_named_barrier, 0
	.set _Z3spmPKfiPKhS2_15HIP_vector_typeIiLj3EES4_PhS5_Pb.private_seg_size, 0
	.set _Z3spmPKfiPKhS2_15HIP_vector_typeIiLj3EES4_PhS5_Pb.uses_vcc, 1
	.set _Z3spmPKfiPKhS2_15HIP_vector_typeIiLj3EES4_PhS5_Pb.uses_flat_scratch, 0
	.set _Z3spmPKfiPKhS2_15HIP_vector_typeIiLj3EES4_PhS5_Pb.has_dyn_sized_stack, 0
	.set _Z3spmPKfiPKhS2_15HIP_vector_typeIiLj3EES4_PhS5_Pb.has_recursion, 0
	.set _Z3spmPKfiPKhS2_15HIP_vector_typeIiLj3EES4_PhS5_Pb.has_indirect_call, 0
	.section	.AMDGPU.csdata,"",@progbits
; Kernel info:
; codeLenInByte = 1996
; TotalNumSgprs: 56
; NumVgprs: 41
; ScratchSize: 0
; MemoryBound: 0
; FloatMode: 240
; IeeeMode: 1
; LDSByteSize: 0 bytes/workgroup (compile time only)
; SGPRBlocks: 0
; VGPRBlocks: 2
; NumSGPRsForWavesPerEU: 56
; NumVGPRsForWavesPerEU: 41
; NamedBarCnt: 0
; Occupancy: 16
; WaveLimiterHint : 0
; COMPUTE_PGM_RSRC2:SCRATCH_EN: 0
; COMPUTE_PGM_RSRC2:USER_SGPR: 2
; COMPUTE_PGM_RSRC2:TRAP_HANDLER: 0
; COMPUTE_PGM_RSRC2:TGID_X_EN: 1
; COMPUTE_PGM_RSRC2:TGID_Y_EN: 0
; COMPUTE_PGM_RSRC2:TGID_Z_EN: 0
; COMPUTE_PGM_RSRC2:TIDIG_COMP_CNT: 0
	.text
	.p2alignl 7, 3214868480
	.fill 96, 4, 3214868480
	.section	.AMDGPU.gpr_maximums,"",@progbits
	.set amdgpu.max_num_vgpr, 0
	.set amdgpu.max_num_agpr, 0
	.set amdgpu.max_num_sgpr, 0
	.text
	.type	__const._Z3spmPKfiPKhS2_15HIP_vector_typeIiLj3EES4_PhS5_Pb.ran,@object ; @__const._Z3spmPKfiPKhS2_15HIP_vector_typeIiLj3EES4_PhS5_Pb.ran
	.section	.rodata,"a",@progbits
	.p2align	4, 0x0
__const._Z3spmPKfiPKhS2_15HIP_vector_typeIiLj3EES4_PhS5_Pb.ran:
	.long	0x3f28182f                      ; float 0.656619012
	.long	0x3f642492                      ; float 0.891183018
	;; [unrolled: 1-line block ×97, first 2 shown]
	.size	__const._Z3spmPKfiPKhS2_15HIP_vector_typeIiLj3EES4_PhS5_Pb.ran, 388

	.type	__hip_cuid_501ade461ca5d765,@object ; @__hip_cuid_501ade461ca5d765
	.section	.bss,"aw",@nobits
	.globl	__hip_cuid_501ade461ca5d765
__hip_cuid_501ade461ca5d765:
	.byte	0                               ; 0x0
	.size	__hip_cuid_501ade461ca5d765, 1

	.ident	"AMD clang version 22.0.0git (https://github.com/RadeonOpenCompute/llvm-project roc-7.2.4 26084 f58b06dce1f9c15707c5f808fd002e18c2accf7e)"
	.section	".note.GNU-stack","",@progbits
	.addrsig
	.addrsig_sym __hip_cuid_501ade461ca5d765
	.amdgpu_metadata
---
amdhsa.kernels:
  - .args:
      - .actual_access:  read_only
        .address_space:  global
        .offset:         0
        .size:           8
        .value_kind:     global_buffer
      - .offset:         8
        .size:           4
        .value_kind:     by_value
      - .actual_access:  read_only
        .address_space:  global
        .offset:         16
        .size:           8
        .value_kind:     global_buffer
      - .actual_access:  read_only
        .address_space:  global
        .offset:         24
        .size:           8
        .value_kind:     global_buffer
      - .offset:         32
        .size:           12
        .value_kind:     by_value
      - .offset:         44
        .size:           12
        .value_kind:     by_value
      - .actual_access:  write_only
        .address_space:  global
        .offset:         56
        .size:           8
        .value_kind:     global_buffer
      - .actual_access:  write_only
        .address_space:  global
        .offset:         64
        .size:           8
        .value_kind:     global_buffer
      - .actual_access:  write_only
        .address_space:  global
        .offset:         72
        .size:           8
        .value_kind:     global_buffer
    .group_segment_fixed_size: 0
    .kernarg_segment_align: 8
    .kernarg_segment_size: 80
    .language:       OpenCL C
    .language_version:
      - 2
      - 0
    .max_flat_workgroup_size: 1024
    .name:           _Z3spmPKfiPKhS2_15HIP_vector_typeIiLj3EES4_PhS5_Pb
    .private_segment_fixed_size: 0
    .sgpr_count:     56
    .sgpr_spill_count: 0
    .symbol:         _Z3spmPKfiPKhS2_15HIP_vector_typeIiLj3EES4_PhS5_Pb.kd
    .uniform_work_group_size: 1
    .uses_dynamic_stack: false
    .vgpr_count:     41
    .vgpr_spill_count: 0
    .wavefront_size: 32
amdhsa.target:   amdgcn-amd-amdhsa--gfx1250
amdhsa.version:
  - 1
  - 2
...

	.end_amdgpu_metadata
